;; amdgpu-corpus repo=ggml-org/llama.cpp kind=compiled arch=gfx906 opt=O3
	.amdgcn_target "amdgcn-amd-amdhsa--gfx906"
	.amdhsa_code_object_version 6
	.section	.text._Z16conv2d_dw_kernelIf11whcn_layoutEvPKT_S3_PS1_iiiiiiiiiiiiii,"axG",@progbits,_Z16conv2d_dw_kernelIf11whcn_layoutEvPKT_S3_PS1_iiiiiiiiiiiiii,comdat
	.protected	_Z16conv2d_dw_kernelIf11whcn_layoutEvPKT_S3_PS1_iiiiiiiiiiiiii ; -- Begin function _Z16conv2d_dw_kernelIf11whcn_layoutEvPKT_S3_PS1_iiiiiiiiiiiiii
	.globl	_Z16conv2d_dw_kernelIf11whcn_layoutEvPKT_S3_PS1_iiiiiiiiiiiiii
	.p2align	8
	.type	_Z16conv2d_dw_kernelIf11whcn_layoutEvPKT_S3_PS1_iiiiiiiiiiiiii,@function
_Z16conv2d_dw_kernelIf11whcn_layoutEvPKT_S3_PS1_iiiiiiiiiiiiii: ; @_Z16conv2d_dw_kernelIf11whcn_layoutEvPKT_S3_PS1_iiiiiiiiiiiiii
; %bb.0:
	s_load_dword s0, s[4:5], 0x5c
	s_load_dwordx8 s[8:15], s[4:5], 0x18
	s_load_dwordx2 s[16:17], s[4:5], 0x48
	s_waitcnt lgkmcnt(0)
	s_and_b32 s0, s0, 0xffff
	s_mul_i32 s6, s6, s0
	s_mul_i32 s7, s11, s10
	v_add_u32_e32 v2, s6, v0
	s_mul_i32 s6, s7, s16
	s_mul_i32 s0, s6, s17
	v_cmp_gt_i32_e32 vcc, s0, v2
	s_and_saveexec_b64 s[0:1], vcc
	s_cbranch_execz .LBB0_12
; %bb.1:
	s_abs_i32 s0, s10
	v_cvt_f32_u32_e32 v0, s0
	s_sub_i32 s2, 0, s0
	s_abs_i32 s17, s11
	v_cvt_f32_u32_e32 v3, s17
	v_rcp_iflag_f32_e32 v0, v0
	v_sub_u32_e32 v5, 0, v2
	s_abs_i32 s18, s7
	v_rcp_iflag_f32_e32 v3, v3
	v_mul_f32_e32 v0, 0x4f7ffffe, v0
	v_cvt_u32_f32_e32 v0, v0
	v_cvt_f32_u32_e32 v8, s18
	v_mul_f32_e32 v3, 0x4f7ffffe, v3
	v_cvt_u32_f32_e32 v3, v3
	v_mul_lo_u32 v4, s2, v0
	s_sub_i32 s2, 0, s17
	v_ashrrev_i32_e32 v1, 31, v2
	s_ashr_i32 s1, s10, 31
	v_mul_hi_u32 v6, v0, v4
	v_max_i32_e32 v4, v2, v5
	v_mul_lo_u32 v5, s2, v3
	s_sub_i32 s19, 0, s18
	v_add_u32_e32 v0, v0, v6
	v_mul_hi_u32 v0, v4, v0
	v_mul_hi_u32 v5, v3, v5
	v_xor_b32_e32 v6, s1, v1
	s_ashr_i32 s7, s7, 31
	v_mul_lo_u32 v7, v0, s0
	v_add_u32_e32 v9, 1, v0
	v_add_u32_e32 v3, v3, v5
	v_sub_u32_e32 v7, v4, v7
	v_cmp_le_u32_e32 vcc, s0, v7
	v_cndmask_b32_e32 v0, v0, v9, vcc
	v_subrev_u32_e32 v9, s0, v7
	v_cndmask_b32_e32 v7, v7, v9, vcc
	v_add_u32_e32 v9, 1, v0
	v_cmp_le_u32_e32 vcc, s0, v7
	v_rcp_iflag_f32_e32 v7, v8
	v_cndmask_b32_e32 v0, v0, v9, vcc
	v_xor_b32_e32 v0, v0, v6
	v_sub_u32_e32 v0, v0, v6
	v_sub_u32_e32 v6, 0, v0
	v_mul_f32_e32 v5, 0x4f7ffffe, v7
	v_max_i32_e32 v8, v0, v6
	v_cvt_u32_f32_e32 v5, v5
	v_mul_hi_u32 v3, v8, v3
	v_mul_lo_u32 v6, v0, s10
	v_ashrrev_i32_e32 v0, 31, v0
	v_mul_lo_u32 v7, s19, v5
	v_mul_lo_u32 v3, v3, s17
	s_load_dwordx4 s[0:3], s[4:5], 0x38
	v_mul_hi_u32 v7, v5, v7
	v_sub_u32_e32 v3, v8, v3
	v_subrev_u32_e32 v8, s17, v3
	v_cmp_le_u32_e32 vcc, s17, v3
	v_cndmask_b32_e32 v3, v3, v8, vcc
	v_xor_b32_e32 v8, s7, v1
	s_abs_i32 s7, s16
	v_add_u32_e32 v5, v5, v7
	v_cvt_f32_u32_e32 v9, s7
	v_mul_hi_u32 v5, v4, v5
	v_subrev_u32_e32 v7, s17, v3
	v_cmp_le_u32_e32 vcc, s17, v3
	v_rcp_iflag_f32_e32 v9, v9
	v_cndmask_b32_e32 v3, v3, v7, vcc
	v_mul_lo_u32 v7, v5, s18
	v_add_u32_e32 v10, 1, v5
	v_mul_f32_e32 v9, 0x4f7ffffe, v9
	v_cvt_u32_f32_e32 v9, v9
	v_sub_u32_e32 v7, v4, v7
	v_cmp_le_u32_e32 vcc, s18, v7
	v_cndmask_b32_e32 v5, v5, v10, vcc
	v_subrev_u32_e32 v10, s18, v7
	v_cndmask_b32_e32 v7, v7, v10, vcc
	s_sub_i32 s17, 0, s7
	v_add_u32_e32 v10, 1, v5
	v_cmp_le_u32_e32 vcc, s18, v7
	v_mul_lo_u32 v7, s17, v9
	s_abs_i32 s17, s6
	v_cndmask_b32_e32 v5, v5, v10, vcc
	v_cvt_f32_u32_e32 v10, s17
	v_mul_hi_u32 v7, v9, v7
	v_xor_b32_e32 v5, v5, v8
	v_sub_u32_e32 v5, v5, v8
	v_rcp_iflag_f32_e32 v10, v10
	v_sub_u32_e32 v8, 0, v5
	v_max_i32_e32 v8, v5, v8
	v_add_u32_e32 v7, v9, v7
	v_mul_f32_e32 v9, 0x4f7ffffe, v10
	v_mul_hi_u32 v7, v8, v7
	v_cvt_u32_f32_e32 v9, v9
	v_xor_b32_e32 v3, v3, v0
	s_sub_i32 s18, 0, s17
	v_sub_u32_e32 v0, v3, v0
	v_mul_lo_u32 v3, v7, s7
	v_mul_lo_u32 v7, s18, v9
	v_ashrrev_i32_e32 v5, 31, v5
	s_ashr_i32 s6, s6, 31
	v_sub_u32_e32 v3, v8, v3
	v_mul_hi_u32 v7, v9, v7
	v_subrev_u32_e32 v8, s7, v3
	v_cmp_le_u32_e32 vcc, s7, v3
	v_cndmask_b32_e32 v3, v3, v8, vcc
	v_add_u32_e32 v7, v9, v7
	v_mul_hi_u32 v7, v4, v7
	v_subrev_u32_e32 v8, s7, v3
	v_cmp_le_u32_e32 vcc, s7, v3
	v_cndmask_b32_e32 v3, v3, v8, vcc
	v_xor_b32_e32 v3, v3, v5
	s_waitcnt lgkmcnt(0)
	s_abs_i32 s7, s3
	v_sub_u32_e32 v3, v3, v5
	v_mul_lo_u32 v5, v7, s17
	v_cvt_f32_u32_e32 v8, s7
	v_xor_b32_e32 v1, s6, v1
	s_sub_i32 s6, 0, s7
	v_sub_u32_e32 v4, v4, v5
	v_rcp_iflag_f32_e32 v5, v8
	v_add_u32_e32 v8, 1, v7
	v_cmp_le_u32_e32 vcc, s17, v4
	v_cndmask_b32_e32 v8, v7, v8, vcc
	v_mul_f32_e32 v5, 0x4f7ffffe, v5
	v_cvt_u32_f32_e32 v5, v5
	v_subrev_u32_e32 v7, s17, v4
	v_cndmask_b32_e32 v4, v4, v7, vcc
	v_mul_lo_u32 v7, v0, s15
	v_mul_lo_u32 v9, s6, v5
	s_add_i32 s6, s1, s3
	v_add_u32_e32 v10, 1, v8
	v_xad_u32 v11, v7, -1, s6
	v_mul_hi_u32 v9, v5, v9
	v_sub_u32_e32 v12, 0, v11
	v_max_i32_e32 v12, v11, v12
	v_cmp_le_u32_e32 vcc, s17, v4
	v_add_u32_e32 v9, v5, v9
	v_mul_hi_u32 v13, v12, v9
	v_cndmask_b32_e32 v4, v8, v10, vcc
	v_xor_b32_e32 v4, v4, v1
	v_sub_u32_e32 v5, v4, v1
	v_mul_lo_u32 v1, v13, s7
	v_ashrrev_i32_e32 v4, 31, v11
	v_add_u32_e32 v11, s9, v11
	v_add_u32_e32 v8, 1, v13
	v_sub_u32_e32 v1, v12, v1
	v_sub_u32_e32 v12, 0, v11
	v_cmp_le_u32_e32 vcc, s7, v1
	v_subrev_u32_e32 v10, s7, v1
	v_max_i32_e32 v12, v11, v12
	v_cndmask_b32_e32 v8, v13, v8, vcc
	v_cndmask_b32_e32 v1, v1, v10, vcc
	v_mul_hi_u32 v9, v12, v9
	s_ashr_i32 s6, s3, 31
	v_add_u32_e32 v10, 1, v8
	v_cmp_le_u32_e32 vcc, s7, v1
	v_xor_b32_e32 v4, s6, v4
	v_cndmask_b32_e32 v1, v8, v10, vcc
	v_xor_b32_e32 v1, v1, v4
	v_sub_u32_e32 v1, v1, v4
	v_mul_lo_u32 v4, v9, s7
	v_add_u32_e32 v10, 1, v9
	v_ashrrev_i32_e32 v8, 31, v11
	v_xor_b32_e32 v8, s6, v8
	v_sub_u32_e32 v4, v12, v4
	v_cmp_le_u32_e32 vcc, s7, v4
	v_cndmask_b32_e32 v9, v9, v10, vcc
	v_subrev_u32_e32 v10, s7, v4
	v_cndmask_b32_e32 v4, v4, v10, vcc
	v_add_u32_e32 v10, 1, v9
	v_cmp_le_u32_e32 vcc, s7, v4
	v_cndmask_b32_e32 v4, v9, v10, vcc
	v_xor_b32_e32 v4, v4, v8
	v_sub_u32_e32 v4, v4, v8
	v_max_i32_e32 v1, 0, v1
	v_min_i32_e32 v12, s13, v4
	v_cmp_ge_i32_e32 vcc, v1, v12
                                        ; implicit-def: $vgpr4
	s_and_saveexec_b64 s[6:7], vcc
	s_xor_b64 s[6:7], exec, s[6:7]
; %bb.2:
	v_mad_u64_u32 v[4:5], s[18:19], v5, s16, v[3:4]
                                        ; implicit-def: $vgpr12
                                        ; implicit-def: $vgpr1
                                        ; implicit-def: $vgpr3
                                        ; implicit-def: $vgpr5
                                        ; implicit-def: $vgpr7
; %bb.3:
	s_or_saveexec_b64 s[20:21], s[6:7]
	s_load_dwordx2 s[18:19], s[4:5], 0x10
	v_sub_u32_e32 v2, v2, v6
	v_mov_b32_e32 v13, 0
	s_xor_b64 exec, exec, s[20:21]
	s_cbranch_execz .LBB0_11
; %bb.4:
	s_abs_i32 s17, s2
	v_cvt_f32_u32_e32 v4, s17
	v_mul_lo_u32 v13, v2, s14
	s_sub_i32 s14, 0, s17
	s_add_i32 s15, s0, s2
	v_rcp_iflag_f32_e32 v4, v4
	v_xad_u32 v8, v13, -1, s15
	v_sub_u32_e32 v9, 0, v8
	v_max_i32_e32 v15, v8, v9
	v_mul_f32_e32 v4, 0x4f7ffffe, v4
	v_cvt_u32_f32_e32 v4, v4
	v_add_u32_e32 v10, s8, v8
	v_ashrrev_i32_e32 v11, 31, v8
	v_sub_u32_e32 v14, 0, v10
	v_mul_lo_u32 v6, s14, v4
	s_ashr_i32 s22, s2, 31
	v_max_i32_e32 v14, v10, v14
	s_load_dwordx4 s[4:7], s[4:5], 0x0
	v_mul_hi_u32 v6, v4, v6
	v_add_u32_e32 v4, v4, v6
	v_mad_u64_u32 v[8:9], s[14:15], v15, v4, 0
	v_ashrrev_i32_e32 v8, 31, v10
	v_xor_b32_e32 v6, s22, v11
	v_mul_lo_u32 v16, v9, s17
	v_mad_u64_u32 v[10:11], s[14:15], v14, v4, 0
	v_add_u32_e32 v4, 1, v9
	v_sub_u32_e32 v10, v15, v16
	v_cmp_le_u32_e32 vcc, s17, v10
	v_cndmask_b32_e32 v4, v9, v4, vcc
	v_subrev_u32_e32 v9, s17, v10
	v_cndmask_b32_e32 v9, v10, v9, vcc
	v_add_u32_e32 v10, 1, v4
	v_cmp_le_u32_e32 vcc, s17, v9
	v_mul_lo_u32 v9, v11, s17
	v_cndmask_b32_e32 v4, v4, v10, vcc
	v_xor_b32_e32 v4, v4, v6
	v_sub_u32_e32 v4, v4, v6
	v_max_i32_e32 v6, 0, v4
	v_sub_u32_e32 v4, v14, v9
	v_cmp_le_u32_e32 vcc, s17, v4
	v_subrev_u32_e32 v10, s17, v4
	v_cndmask_b32_e32 v10, v4, v10, vcc
	v_mad_u64_u32 v[4:5], s[14:15], v5, s16, v[3:4]
	v_add_u32_e32 v9, 1, v11
	v_cndmask_b32_e32 v9, v11, v9, vcc
	v_add_u32_e32 v11, 1, v9
	v_cmp_le_u32_e32 vcc, s17, v10
	v_cndmask_b32_e32 v5, v9, v11, vcc
	v_mul_lo_u32 v9, v4, s9
	v_mul_lo_u32 v10, s3, v1
	v_xor_b32_e32 v8, s22, v8
	v_xor_b32_e32 v5, v5, v8
	v_mul_lo_u32 v11, s2, v6
	v_add3_u32 v7, v10, v9, v7
	v_subrev_u32_e32 v7, s1, v7
	v_mul_lo_u32 v9, s8, v7
	v_sub_u32_e32 v5, v5, v8
	v_mad_u64_u32 v[7:8], s[14:15], v3, s13, v[1:2]
	v_add3_u32 v3, v11, v9, v13
	v_subrev_u32_e32 v3, s0, v3
	v_mad_u64_u32 v[7:8], s[0:1], s12, v7, v[6:7]
	v_min_i32_e32 v5, s12, v5
	v_cmp_lt_i32_e32 vcc, v6, v5
	s_mul_i32 s3, s3, s8
	v_mov_b32_e32 v13, 0
	s_mov_b64 s[8:9], 0
	s_branch .LBB0_6
.LBB0_5:                                ;   in Loop: Header=BB0_6 Depth=1
	s_or_b64 exec, exec, s[14:15]
	v_add_u32_e32 v1, 1, v1
	v_cmp_ge_i32_e64 s[0:1], v1, v12
	v_add_u32_e32 v3, s3, v3
	s_or_b64 s[8:9], s[0:1], s[8:9]
	v_add_u32_e32 v7, s12, v7
	s_andn2_b64 exec, exec, s[8:9]
	s_cbranch_execz .LBB0_10
.LBB0_6:                                ; =>This Loop Header: Depth=1
                                        ;     Child Loop BB0_8 Depth 2
	s_and_saveexec_b64 s[14:15], vcc
	s_cbranch_execz .LBB0_5
; %bb.7:                                ;   in Loop: Header=BB0_6 Depth=1
	v_ashrrev_i32_e32 v8, 31, v7
	v_lshlrev_b64 v[8:9], 2, v[7:8]
	s_waitcnt lgkmcnt(0)
	v_mov_b32_e32 v10, s7
	v_add_co_u32_e64 v8, s[0:1], s6, v8
	v_addc_co_u32_e64 v9, s[0:1], v10, v9, s[0:1]
	s_mov_b64 s[16:17], 0
	v_mov_b32_e32 v10, v3
	v_mov_b32_e32 v14, v6
.LBB0_8:                                ;   Parent Loop BB0_6 Depth=1
                                        ; =>  This Inner Loop Header: Depth=2
	v_ashrrev_i32_e32 v11, 31, v10
	v_lshlrev_b64 v[15:16], 2, v[10:11]
	v_mov_b32_e32 v17, s5
	v_add_co_u32_e64 v15, s[0:1], s4, v15
	v_addc_co_u32_e64 v16, s[0:1], v17, v16, s[0:1]
	global_load_dword v18, v[8:9], off
	global_load_dword v11, v[15:16], off
	v_add_co_u32_e64 v8, s[0:1], 4, v8
	v_add_u32_e32 v14, 1, v14
	v_addc_co_u32_e64 v9, s[0:1], 0, v9, s[0:1]
	v_cmp_ge_i32_e64 s[0:1], v14, v5
	v_add_u32_e32 v10, s2, v10
	s_or_b64 s[16:17], s[0:1], s[16:17]
	s_waitcnt vmcnt(0)
	v_fmac_f32_e32 v13, v11, v18
	s_andn2_b64 exec, exec, s[16:17]
	s_cbranch_execnz .LBB0_8
; %bb.9:                                ;   in Loop: Header=BB0_6 Depth=1
	s_or_b64 exec, exec, s[16:17]
	s_branch .LBB0_5
.LBB0_10:
	s_or_b64 exec, exec, s[8:9]
.LBB0_11:
	s_or_b64 exec, exec, s[20:21]
	v_mad_u64_u32 v[0:1], s[0:1], v4, s11, v[0:1]
	v_mad_u64_u32 v[0:1], s[0:1], v0, s10, v[2:3]
	s_waitcnt lgkmcnt(0)
	v_mov_b32_e32 v2, s19
	v_ashrrev_i32_e32 v1, 31, v0
	v_lshlrev_b64 v[0:1], 2, v[0:1]
	v_add_co_u32_e32 v0, vcc, s18, v0
	v_addc_co_u32_e32 v1, vcc, v2, v1, vcc
	global_store_dword v[0:1], v13, off
.LBB0_12:
	s_endpgm
	.section	.rodata,"a",@progbits
	.p2align	6, 0x0
	.amdhsa_kernel _Z16conv2d_dw_kernelIf11whcn_layoutEvPKT_S3_PS1_iiiiiiiiiiiiii
		.amdhsa_group_segment_fixed_size 0
		.amdhsa_private_segment_fixed_size 0
		.amdhsa_kernarg_size 336
		.amdhsa_user_sgpr_count 6
		.amdhsa_user_sgpr_private_segment_buffer 1
		.amdhsa_user_sgpr_dispatch_ptr 0
		.amdhsa_user_sgpr_queue_ptr 0
		.amdhsa_user_sgpr_kernarg_segment_ptr 1
		.amdhsa_user_sgpr_dispatch_id 0
		.amdhsa_user_sgpr_flat_scratch_init 0
		.amdhsa_user_sgpr_private_segment_size 0
		.amdhsa_uses_dynamic_stack 0
		.amdhsa_system_sgpr_private_segment_wavefront_offset 0
		.amdhsa_system_sgpr_workgroup_id_x 1
		.amdhsa_system_sgpr_workgroup_id_y 0
		.amdhsa_system_sgpr_workgroup_id_z 0
		.amdhsa_system_sgpr_workgroup_info 0
		.amdhsa_system_vgpr_workitem_id 0
		.amdhsa_next_free_vgpr 19
		.amdhsa_next_free_sgpr 23
		.amdhsa_reserve_vcc 1
		.amdhsa_reserve_flat_scratch 0
		.amdhsa_float_round_mode_32 0
		.amdhsa_float_round_mode_16_64 0
		.amdhsa_float_denorm_mode_32 3
		.amdhsa_float_denorm_mode_16_64 3
		.amdhsa_dx10_clamp 1
		.amdhsa_ieee_mode 1
		.amdhsa_fp16_overflow 0
		.amdhsa_exception_fp_ieee_invalid_op 0
		.amdhsa_exception_fp_denorm_src 0
		.amdhsa_exception_fp_ieee_div_zero 0
		.amdhsa_exception_fp_ieee_overflow 0
		.amdhsa_exception_fp_ieee_underflow 0
		.amdhsa_exception_fp_ieee_inexact 0
		.amdhsa_exception_int_div_zero 0
	.end_amdhsa_kernel
	.section	.text._Z16conv2d_dw_kernelIf11whcn_layoutEvPKT_S3_PS1_iiiiiiiiiiiiii,"axG",@progbits,_Z16conv2d_dw_kernelIf11whcn_layoutEvPKT_S3_PS1_iiiiiiiiiiiiii,comdat
.Lfunc_end0:
	.size	_Z16conv2d_dw_kernelIf11whcn_layoutEvPKT_S3_PS1_iiiiiiiiiiiiii, .Lfunc_end0-_Z16conv2d_dw_kernelIf11whcn_layoutEvPKT_S3_PS1_iiiiiiiiiiiiii
                                        ; -- End function
	.set _Z16conv2d_dw_kernelIf11whcn_layoutEvPKT_S3_PS1_iiiiiiiiiiiiii.num_vgpr, 19
	.set _Z16conv2d_dw_kernelIf11whcn_layoutEvPKT_S3_PS1_iiiiiiiiiiiiii.num_agpr, 0
	.set _Z16conv2d_dw_kernelIf11whcn_layoutEvPKT_S3_PS1_iiiiiiiiiiiiii.numbered_sgpr, 23
	.set _Z16conv2d_dw_kernelIf11whcn_layoutEvPKT_S3_PS1_iiiiiiiiiiiiii.num_named_barrier, 0
	.set _Z16conv2d_dw_kernelIf11whcn_layoutEvPKT_S3_PS1_iiiiiiiiiiiiii.private_seg_size, 0
	.set _Z16conv2d_dw_kernelIf11whcn_layoutEvPKT_S3_PS1_iiiiiiiiiiiiii.uses_vcc, 1
	.set _Z16conv2d_dw_kernelIf11whcn_layoutEvPKT_S3_PS1_iiiiiiiiiiiiii.uses_flat_scratch, 0
	.set _Z16conv2d_dw_kernelIf11whcn_layoutEvPKT_S3_PS1_iiiiiiiiiiiiii.has_dyn_sized_stack, 0
	.set _Z16conv2d_dw_kernelIf11whcn_layoutEvPKT_S3_PS1_iiiiiiiiiiiiii.has_recursion, 0
	.set _Z16conv2d_dw_kernelIf11whcn_layoutEvPKT_S3_PS1_iiiiiiiiiiiiii.has_indirect_call, 0
	.section	.AMDGPU.csdata,"",@progbits
; Kernel info:
; codeLenInByte = 1564
; TotalNumSgprs: 27
; NumVgprs: 19
; ScratchSize: 0
; MemoryBound: 0
; FloatMode: 240
; IeeeMode: 1
; LDSByteSize: 0 bytes/workgroup (compile time only)
; SGPRBlocks: 3
; VGPRBlocks: 4
; NumSGPRsForWavesPerEU: 27
; NumVGPRsForWavesPerEU: 19
; Occupancy: 10
; WaveLimiterHint : 0
; COMPUTE_PGM_RSRC2:SCRATCH_EN: 0
; COMPUTE_PGM_RSRC2:USER_SGPR: 6
; COMPUTE_PGM_RSRC2:TRAP_HANDLER: 0
; COMPUTE_PGM_RSRC2:TGID_X_EN: 1
; COMPUTE_PGM_RSRC2:TGID_Y_EN: 0
; COMPUTE_PGM_RSRC2:TGID_Z_EN: 0
; COMPUTE_PGM_RSRC2:TIDIG_COMP_CNT: 0
	.section	.text._Z16conv2d_dw_kernelIf11cwhn_layoutEvPKT_S3_PS1_iiiiiiiiiiiiii,"axG",@progbits,_Z16conv2d_dw_kernelIf11cwhn_layoutEvPKT_S3_PS1_iiiiiiiiiiiiii,comdat
	.protected	_Z16conv2d_dw_kernelIf11cwhn_layoutEvPKT_S3_PS1_iiiiiiiiiiiiii ; -- Begin function _Z16conv2d_dw_kernelIf11cwhn_layoutEvPKT_S3_PS1_iiiiiiiiiiiiii
	.globl	_Z16conv2d_dw_kernelIf11cwhn_layoutEvPKT_S3_PS1_iiiiiiiiiiiiii
	.p2align	8
	.type	_Z16conv2d_dw_kernelIf11cwhn_layoutEvPKT_S3_PS1_iiiiiiiiiiiiii,@function
_Z16conv2d_dw_kernelIf11cwhn_layoutEvPKT_S3_PS1_iiiiiiiiiiiiii: ; @_Z16conv2d_dw_kernelIf11cwhn_layoutEvPKT_S3_PS1_iiiiiiiiiiiiii
; %bb.0:
	s_load_dword s0, s[4:5], 0x5c
	s_load_dwordx2 s[16:17], s[4:5], 0x48
	s_load_dwordx8 s[8:15], s[4:5], 0x18
	s_waitcnt lgkmcnt(0)
	s_and_b32 s0, s0, 0xffff
	s_mul_i32 s6, s6, s0
	s_mul_i32 s7, s16, s10
	v_add_u32_e32 v0, s6, v0
	s_mul_i32 s6, s7, s11
	s_mul_i32 s0, s6, s17
	v_cmp_gt_i32_e32 vcc, s0, v0
	s_and_saveexec_b64 s[0:1], vcc
	s_cbranch_execz .LBB1_10
; %bb.1:
	s_abs_i32 s0, s16
	v_cvt_f32_u32_e32 v1, s0
	s_sub_i32 s2, 0, s0
	s_abs_i32 s17, s10
	v_cvt_f32_u32_e32 v2, s17
	v_rcp_iflag_f32_e32 v1, v1
	v_sub_u32_e32 v5, 0, v0
	v_max_i32_e32 v5, v0, v5
	v_rcp_iflag_f32_e32 v2, v2
	v_mul_f32_e32 v1, 0x4f7ffffe, v1
	v_cvt_u32_f32_e32 v1, v1
	s_abs_i32 s20, s7
	v_mul_f32_e32 v2, 0x4f7ffffe, v2
	v_cvt_u32_f32_e32 v7, v2
	v_mul_lo_u32 v3, s2, v1
	s_sub_i32 s2, 0, s17
	v_cvt_f32_u32_e32 v8, s20
	v_ashrrev_i32_e32 v4, 31, v0
	v_mul_hi_u32 v3, v1, v3
	s_ashr_i32 s1, s16, 31
	v_xor_b32_e32 v2, s1, v4
	v_rcp_iflag_f32_e32 v8, v8
	v_add_u32_e32 v1, v1, v3
	v_mul_hi_u32 v1, v5, v1
	v_mul_lo_u32 v3, s2, v7
	s_ashr_i32 s7, s7, 31
	v_mov_b32_e32 v15, 0
	v_mul_lo_u32 v6, v1, s0
	v_add_u32_e32 v9, 1, v1
	v_mul_hi_u32 v3, v7, v3
	v_sub_u32_e32 v6, v5, v6
	v_cmp_le_u32_e32 vcc, s0, v6
	v_cndmask_b32_e32 v1, v1, v9, vcc
	v_subrev_u32_e32 v9, s0, v6
	v_cndmask_b32_e32 v6, v6, v9, vcc
	v_add_u32_e32 v9, 1, v1
	v_cmp_le_u32_e32 vcc, s0, v6
	v_cndmask_b32_e32 v1, v1, v9, vcc
	v_xor_b32_e32 v6, v1, v2
	v_sub_u32_e32 v10, v6, v2
	v_sub_u32_e32 v1, 0, v10
	v_max_i32_e32 v1, v10, v1
	v_add_u32_e32 v3, v7, v3
	v_mul_f32_e32 v7, 0x4f7ffffe, v8
	v_mul_hi_u32 v3, v1, v3
	v_cvt_u32_f32_e32 v7, v7
	s_sub_i32 s0, 0, s20
	v_ashrrev_i32_e32 v9, 31, v10
	v_mul_lo_u32 v3, v3, s17
	v_mul_lo_u32 v8, s0, v7
	s_load_dwordx2 s[18:19], s[4:5], 0x10
	s_load_dwordx4 s[0:3], s[4:5], 0x38
	v_sub_u32_e32 v1, v1, v3
	v_mul_hi_u32 v3, v7, v8
	v_subrev_u32_e32 v8, s17, v1
	v_cmp_le_u32_e32 vcc, s17, v1
	v_cndmask_b32_e32 v1, v1, v8, vcc
	v_xor_b32_e32 v8, s7, v4
	s_abs_i32 s7, s11
	v_add_u32_e32 v3, v7, v3
	v_cvt_f32_u32_e32 v11, s7
	v_mul_hi_u32 v3, v5, v3
	v_subrev_u32_e32 v7, s17, v1
	v_cmp_le_u32_e32 vcc, s17, v1
	v_rcp_iflag_f32_e32 v11, v11
	v_cndmask_b32_e32 v1, v1, v7, vcc
	v_mul_lo_u32 v7, v3, s20
	v_add_u32_e32 v12, 1, v3
	v_mul_f32_e32 v11, 0x4f7ffffe, v11
	v_cvt_u32_f32_e32 v11, v11
	v_sub_u32_e32 v7, v5, v7
	v_cmp_le_u32_e32 vcc, s20, v7
	v_cndmask_b32_e32 v3, v3, v12, vcc
	v_subrev_u32_e32 v12, s20, v7
	v_cndmask_b32_e32 v7, v7, v12, vcc
	s_sub_i32 s17, 0, s7
	v_add_u32_e32 v12, 1, v3
	v_cmp_le_u32_e32 vcc, s20, v7
	v_mul_lo_u32 v7, s17, v11
	s_abs_i32 s17, s6
	v_cndmask_b32_e32 v3, v3, v12, vcc
	v_cvt_f32_u32_e32 v12, s17
	v_mul_hi_u32 v7, v11, v7
	v_xor_b32_e32 v3, v3, v8
	v_sub_u32_e32 v3, v3, v8
	v_rcp_iflag_f32_e32 v12, v12
	v_add_u32_e32 v7, v11, v7
	v_sub_u32_e32 v8, 0, v3
	v_max_i32_e32 v8, v3, v8
	v_mul_f32_e32 v11, 0x4f7ffffe, v12
	v_cvt_u32_f32_e32 v11, v11
	v_xor_b32_e32 v1, v1, v9
	v_mul_hi_u32 v7, v8, v7
	s_sub_i32 s20, 0, s17
	v_sub_u32_e32 v1, v1, v9
	v_mul_lo_u32 v9, s20, v11
	v_mul_lo_u32 v7, v7, s7
	v_ashrrev_i32_e32 v3, 31, v3
	s_ashr_i32 s6, s6, 31
	v_mul_hi_u32 v9, v11, v9
	v_sub_u32_e32 v7, v8, v7
	v_subrev_u32_e32 v8, s7, v7
	v_cmp_le_u32_e32 vcc, s7, v7
	v_add_u32_e32 v9, v11, v9
	v_cndmask_b32_e32 v7, v7, v8, vcc
	v_mul_hi_u32 v9, v5, v9
	v_subrev_u32_e32 v8, s7, v7
	v_cmp_le_u32_e32 vcc, s7, v7
	v_cndmask_b32_e32 v7, v7, v8, vcc
	v_xor_b32_e32 v7, v7, v3
	s_waitcnt lgkmcnt(0)
	s_abs_i32 s7, s3
	v_sub_u32_e32 v3, v7, v3
	v_mul_lo_u32 v7, v9, s17
	v_cvt_f32_u32_e32 v8, s7
	v_xor_b32_e32 v11, s6, v4
	s_sub_i32 s6, 0, s7
	v_sub_u32_e32 v4, v5, v7
	v_rcp_iflag_f32_e32 v5, v8
	v_add_u32_e32 v7, 1, v9
	v_cmp_le_u32_e32 vcc, s17, v4
	v_cndmask_b32_e32 v7, v9, v7, vcc
	v_mul_f32_e32 v5, 0x4f7ffffe, v5
	v_cvt_u32_f32_e32 v5, v5
	v_subrev_u32_e32 v8, s17, v4
	v_cndmask_b32_e32 v8, v4, v8, vcc
	v_mul_lo_u32 v4, v3, s15
	v_mul_lo_u32 v9, s6, v5
	s_add_i32 s6, s1, s3
	v_add_u32_e32 v12, 1, v7
	v_xad_u32 v13, v4, -1, s6
	v_mul_hi_u32 v9, v5, v9
	v_sub_u32_e32 v14, 0, v13
	v_max_i32_e32 v14, v13, v14
	v_cmp_le_u32_e32 vcc, s17, v8
	v_add_u32_e32 v5, v5, v9
	v_mul_hi_u32 v9, v14, v5
	v_cndmask_b32_e32 v7, v7, v12, vcc
	v_xor_b32_e32 v7, v7, v11
	v_sub_u32_e32 v11, v7, v11
	v_mul_lo_u32 v7, v9, s7
	v_ashrrev_i32_e32 v8, 31, v13
	v_add_u32_e32 v13, s9, v13
	v_add_u32_e32 v12, 1, v9
	v_sub_u32_e32 v7, v14, v7
	v_cmp_le_u32_e32 vcc, s7, v7
	v_sub_u32_e32 v14, 0, v13
	v_cndmask_b32_e32 v9, v9, v12, vcc
	v_subrev_u32_e32 v12, s7, v7
	v_max_i32_e32 v14, v13, v14
	v_cndmask_b32_e32 v7, v7, v12, vcc
	v_mul_hi_u32 v5, v14, v5
	s_ashr_i32 s6, s3, 31
	v_add_u32_e32 v12, 1, v9
	v_cmp_le_u32_e32 vcc, s7, v7
	v_xor_b32_e32 v8, s6, v8
	v_cndmask_b32_e32 v7, v9, v12, vcc
	v_xor_b32_e32 v7, v7, v8
	v_sub_u32_e32 v7, v7, v8
	v_mul_lo_u32 v8, v5, s7
	v_add_u32_e32 v9, 1, v5
	v_max_i32_e32 v12, 0, v7
	v_ashrrev_i32_e32 v7, 31, v13
	v_sub_u32_e32 v8, v14, v8
	v_cmp_le_u32_e32 vcc, s7, v8
	v_cndmask_b32_e32 v5, v5, v9, vcc
	v_subrev_u32_e32 v9, s7, v8
	v_cndmask_b32_e32 v8, v8, v9, vcc
	v_add_u32_e32 v9, 1, v5
	v_cmp_le_u32_e32 vcc, s7, v8
	v_xor_b32_e32 v7, s6, v7
	v_cndmask_b32_e32 v5, v5, v9, vcc
	v_xor_b32_e32 v5, v5, v7
	v_sub_u32_e32 v5, v5, v7
	v_min_i32_e32 v13, s13, v5
	v_cmp_lt_i32_e32 vcc, v12, v13
	s_and_saveexec_b64 s[20:21], vcc
	s_cbranch_execz .LBB1_9
; %bb.2:
	s_abs_i32 s13, s2
	v_cvt_f32_u32_e32 v5, s13
	s_sub_i32 s15, 0, s13
	v_mul_lo_u32 v9, v1, s14
	s_add_i32 s14, s0, s2
	v_rcp_iflag_f32_e32 v5, v5
	s_ashr_i32 s17, s2, 31
	v_xad_u32 v8, v9, -1, s14
	v_sub_u32_e32 v15, 0, v8
	v_mul_f32_e32 v5, 0x4f7ffffe, v5
	v_cvt_u32_f32_e32 v5, v5
	v_max_i32_e32 v17, v8, v15
	v_ashrrev_i32_e32 v14, 31, v8
	v_add_u32_e32 v16, s8, v8
	v_mul_lo_u32 v7, s15, v5
	v_sub_u32_e32 v15, 0, v16
	v_xor_b32_e32 v18, s17, v14
	s_load_dwordx4 s[4:7], s[4:5], 0x0
	v_mul_hi_u32 v7, v5, v7
	v_add_u32_e32 v5, v5, v7
	v_mad_u64_u32 v[7:8], s[14:15], v17, v5, 0
	v_ashrrev_i32_e32 v7, 31, v16
	v_max_i32_e32 v16, v16, v15
	v_mul_lo_u32 v19, v8, s13
	v_mad_u64_u32 v[14:15], s[14:15], v16, v5, 0
	v_add_u32_e32 v14, 1, v8
	v_sub_u32_e32 v5, v17, v19
	v_cmp_le_u32_e32 vcc, s13, v5
	v_cndmask_b32_e32 v8, v8, v14, vcc
	v_subrev_u32_e32 v14, s13, v5
	v_cndmask_b32_e32 v5, v5, v14, vcc
	v_add_u32_e32 v14, 1, v8
	v_cmp_le_u32_e32 vcc, s13, v5
	v_cndmask_b32_e32 v5, v8, v14, vcc
	v_mul_lo_u32 v8, v15, s13
	v_xor_b32_e32 v5, v5, v18
	v_sub_u32_e32 v5, v5, v18
	v_max_i32_e32 v14, 0, v5
	v_xor_b32_e32 v5, s17, v7
	v_sub_u32_e32 v7, v16, v8
	v_add_u32_e32 v8, 1, v15
	v_cmp_le_u32_e32 vcc, s13, v7
	v_cndmask_b32_e32 v8, v15, v8, vcc
	v_subrev_u32_e32 v15, s13, v7
	v_cndmask_b32_e32 v7, v7, v15, vcc
	v_add_u32_e32 v15, 1, v8
	v_cmp_le_u32_e32 vcc, s13, v7
	v_cndmask_b32_e32 v7, v8, v15, vcc
	v_mul_lo_u32 v15, v11, s9
	v_mul_lo_u32 v16, s3, v12
	v_xor_b32_e32 v17, v7, v5
	v_mad_u64_u32 v[7:8], s[14:15], s2, v14, v[2:3]
	v_add3_u32 v4, v16, v4, v15
	v_subrev_u32_e32 v4, s1, v4
	v_mul_lo_u32 v4, s8, v4
	v_sub_u32_e32 v5, v17, v5
	v_min_i32_e32 v16, s12, v5
	s_mul_i32 s14, s16, s3
	v_add3_u32 v4, v7, v4, v9
	v_sub_u32_e32 v4, v4, v6
	v_subrev_u32_e32 v4, s0, v4
	v_mad_u64_u32 v[4:5], s[0:1], s16, v4, v[0:1]
	v_mul_lo_u32 v5, s12, v12
	v_cmp_lt_i32_e32 vcc, v14, v16
	s_mul_i32 s14, s14, s8
	s_mul_i32 s15, s16, s2
	v_add3_u32 v2, v2, v14, v5
	v_sub_u32_e32 v2, v2, v6
	v_mad_u64_u32 v[5:6], s[0:1], s16, v2, v[0:1]
	s_mul_i32 s17, s16, s12
	v_mov_b32_e32 v15, 0
	s_mov_b64 s[2:3], 0
	s_branch .LBB1_4
.LBB1_3:                                ;   in Loop: Header=BB1_4 Depth=1
	s_or_b64 exec, exec, s[8:9]
	v_add_u32_e32 v12, 1, v12
	v_cmp_ge_i32_e64 s[0:1], v12, v13
	v_add_u32_e32 v4, s14, v4
	s_or_b64 s[2:3], s[0:1], s[2:3]
	v_add_u32_e32 v5, s17, v5
	s_andn2_b64 exec, exec, s[2:3]
	s_cbranch_execz .LBB1_8
.LBB1_4:                                ; =>This Loop Header: Depth=1
                                        ;     Child Loop BB1_6 Depth 2
	s_and_saveexec_b64 s[8:9], vcc
	s_cbranch_execz .LBB1_3
; %bb.5:                                ;   in Loop: Header=BB1_4 Depth=1
	s_mov_b64 s[12:13], 0
	v_mov_b32_e32 v6, v5
	v_mov_b32_e32 v8, v4
	v_mov_b32_e32 v2, v14
.LBB1_6:                                ;   Parent Loop BB1_4 Depth=1
                                        ; =>  This Inner Loop Header: Depth=2
	v_ashrrev_i32_e32 v9, 31, v8
	v_lshlrev_b64 v[17:18], 2, v[8:9]
	s_waitcnt lgkmcnt(0)
	v_mov_b32_e32 v7, s5
	v_add_co_u32_e64 v17, s[0:1], s4, v17
	v_addc_co_u32_e64 v18, s[0:1], v7, v18, s[0:1]
	v_ashrrev_i32_e32 v7, 31, v6
	global_load_dword v9, v[17:18], off
	v_lshlrev_b64 v[17:18], 2, v[6:7]
	v_mov_b32_e32 v7, s7
	v_add_co_u32_e64 v17, s[0:1], s6, v17
	v_addc_co_u32_e64 v18, s[0:1], v7, v18, s[0:1]
	global_load_dword v7, v[17:18], off
	v_add_u32_e32 v2, 1, v2
	v_cmp_ge_i32_e64 s[0:1], v2, v16
	v_add_u32_e32 v8, s15, v8
	s_or_b64 s[12:13], s[0:1], s[12:13]
	v_add_u32_e32 v6, s16, v6
	s_waitcnt vmcnt(0)
	v_fmac_f32_e32 v15, v9, v7
	s_andn2_b64 exec, exec, s[12:13]
	s_cbranch_execnz .LBB1_6
; %bb.7:                                ;   in Loop: Header=BB1_4 Depth=1
	s_or_b64 exec, exec, s[12:13]
	s_branch .LBB1_3
.LBB1_8:
	s_or_b64 exec, exec, s[2:3]
.LBB1_9:
	s_or_b64 exec, exec, s[20:21]
	v_mad_u64_u32 v[2:3], s[0:1], v11, s11, v[3:4]
	v_mul_lo_u32 v3, v10, s16
	v_mad_u64_u32 v[1:2], s[0:1], v2, s10, v[1:2]
	v_sub_u32_e32 v0, v0, v3
	v_mov_b32_e32 v2, s19
	v_mad_u64_u32 v[0:1], s[0:1], v1, s16, v[0:1]
	v_ashrrev_i32_e32 v1, 31, v0
	v_lshlrev_b64 v[0:1], 2, v[0:1]
	v_add_co_u32_e32 v0, vcc, s18, v0
	v_addc_co_u32_e32 v1, vcc, v2, v1, vcc
	global_store_dword v[0:1], v15, off
.LBB1_10:
	s_endpgm
	.section	.rodata,"a",@progbits
	.p2align	6, 0x0
	.amdhsa_kernel _Z16conv2d_dw_kernelIf11cwhn_layoutEvPKT_S3_PS1_iiiiiiiiiiiiii
		.amdhsa_group_segment_fixed_size 0
		.amdhsa_private_segment_fixed_size 0
		.amdhsa_kernarg_size 336
		.amdhsa_user_sgpr_count 6
		.amdhsa_user_sgpr_private_segment_buffer 1
		.amdhsa_user_sgpr_dispatch_ptr 0
		.amdhsa_user_sgpr_queue_ptr 0
		.amdhsa_user_sgpr_kernarg_segment_ptr 1
		.amdhsa_user_sgpr_dispatch_id 0
		.amdhsa_user_sgpr_flat_scratch_init 0
		.amdhsa_user_sgpr_private_segment_size 0
		.amdhsa_uses_dynamic_stack 0
		.amdhsa_system_sgpr_private_segment_wavefront_offset 0
		.amdhsa_system_sgpr_workgroup_id_x 1
		.amdhsa_system_sgpr_workgroup_id_y 0
		.amdhsa_system_sgpr_workgroup_id_z 0
		.amdhsa_system_sgpr_workgroup_info 0
		.amdhsa_system_vgpr_workitem_id 0
		.amdhsa_next_free_vgpr 20
		.amdhsa_next_free_sgpr 22
		.amdhsa_reserve_vcc 1
		.amdhsa_reserve_flat_scratch 0
		.amdhsa_float_round_mode_32 0
		.amdhsa_float_round_mode_16_64 0
		.amdhsa_float_denorm_mode_32 3
		.amdhsa_float_denorm_mode_16_64 3
		.amdhsa_dx10_clamp 1
		.amdhsa_ieee_mode 1
		.amdhsa_fp16_overflow 0
		.amdhsa_exception_fp_ieee_invalid_op 0
		.amdhsa_exception_fp_denorm_src 0
		.amdhsa_exception_fp_ieee_div_zero 0
		.amdhsa_exception_fp_ieee_overflow 0
		.amdhsa_exception_fp_ieee_underflow 0
		.amdhsa_exception_fp_ieee_inexact 0
		.amdhsa_exception_int_div_zero 0
	.end_amdhsa_kernel
	.section	.text._Z16conv2d_dw_kernelIf11cwhn_layoutEvPKT_S3_PS1_iiiiiiiiiiiiii,"axG",@progbits,_Z16conv2d_dw_kernelIf11cwhn_layoutEvPKT_S3_PS1_iiiiiiiiiiiiii,comdat
.Lfunc_end1:
	.size	_Z16conv2d_dw_kernelIf11cwhn_layoutEvPKT_S3_PS1_iiiiiiiiiiiiii, .Lfunc_end1-_Z16conv2d_dw_kernelIf11cwhn_layoutEvPKT_S3_PS1_iiiiiiiiiiiiii
                                        ; -- End function
	.set _Z16conv2d_dw_kernelIf11cwhn_layoutEvPKT_S3_PS1_iiiiiiiiiiiiii.num_vgpr, 20
	.set _Z16conv2d_dw_kernelIf11cwhn_layoutEvPKT_S3_PS1_iiiiiiiiiiiiii.num_agpr, 0
	.set _Z16conv2d_dw_kernelIf11cwhn_layoutEvPKT_S3_PS1_iiiiiiiiiiiiii.numbered_sgpr, 22
	.set _Z16conv2d_dw_kernelIf11cwhn_layoutEvPKT_S3_PS1_iiiiiiiiiiiiii.num_named_barrier, 0
	.set _Z16conv2d_dw_kernelIf11cwhn_layoutEvPKT_S3_PS1_iiiiiiiiiiiiii.private_seg_size, 0
	.set _Z16conv2d_dw_kernelIf11cwhn_layoutEvPKT_S3_PS1_iiiiiiiiiiiiii.uses_vcc, 1
	.set _Z16conv2d_dw_kernelIf11cwhn_layoutEvPKT_S3_PS1_iiiiiiiiiiiiii.uses_flat_scratch, 0
	.set _Z16conv2d_dw_kernelIf11cwhn_layoutEvPKT_S3_PS1_iiiiiiiiiiiiii.has_dyn_sized_stack, 0
	.set _Z16conv2d_dw_kernelIf11cwhn_layoutEvPKT_S3_PS1_iiiiiiiiiiiiii.has_recursion, 0
	.set _Z16conv2d_dw_kernelIf11cwhn_layoutEvPKT_S3_PS1_iiiiiiiiiiiiii.has_indirect_call, 0
	.section	.AMDGPU.csdata,"",@progbits
; Kernel info:
; codeLenInByte = 1568
; TotalNumSgprs: 26
; NumVgprs: 20
; ScratchSize: 0
; MemoryBound: 0
; FloatMode: 240
; IeeeMode: 1
; LDSByteSize: 0 bytes/workgroup (compile time only)
; SGPRBlocks: 3
; VGPRBlocks: 4
; NumSGPRsForWavesPerEU: 26
; NumVGPRsForWavesPerEU: 20
; Occupancy: 10
; WaveLimiterHint : 0
; COMPUTE_PGM_RSRC2:SCRATCH_EN: 0
; COMPUTE_PGM_RSRC2:USER_SGPR: 6
; COMPUTE_PGM_RSRC2:TRAP_HANDLER: 0
; COMPUTE_PGM_RSRC2:TGID_X_EN: 1
; COMPUTE_PGM_RSRC2:TGID_Y_EN: 0
; COMPUTE_PGM_RSRC2:TGID_Z_EN: 0
; COMPUTE_PGM_RSRC2:TIDIG_COMP_CNT: 0
	.section	.AMDGPU.gpr_maximums,"",@progbits
	.set amdgpu.max_num_vgpr, 0
	.set amdgpu.max_num_agpr, 0
	.set amdgpu.max_num_sgpr, 0
	.section	.AMDGPU.csdata,"",@progbits
	.type	__hip_cuid_5b833f5598bd9e61,@object ; @__hip_cuid_5b833f5598bd9e61
	.section	.bss,"aw",@nobits
	.globl	__hip_cuid_5b833f5598bd9e61
__hip_cuid_5b833f5598bd9e61:
	.byte	0                               ; 0x0
	.size	__hip_cuid_5b833f5598bd9e61, 1

	.ident	"AMD clang version 22.0.0git (https://github.com/RadeonOpenCompute/llvm-project roc-7.2.4 26084 f58b06dce1f9c15707c5f808fd002e18c2accf7e)"
	.section	".note.GNU-stack","",@progbits
	.addrsig
	.addrsig_sym __hip_cuid_5b833f5598bd9e61
	.amdgpu_metadata
---
amdhsa.kernels:
  - .args:
      - .actual_access:  read_only
        .address_space:  global
        .offset:         0
        .size:           8
        .value_kind:     global_buffer
      - .actual_access:  read_only
        .address_space:  global
        .offset:         8
        .size:           8
        .value_kind:     global_buffer
      - .actual_access:  write_only
        .address_space:  global
        .offset:         16
        .size:           8
        .value_kind:     global_buffer
      - .offset:         24
        .size:           4
        .value_kind:     by_value
      - .offset:         28
        .size:           4
        .value_kind:     by_value
      - .offset:         32
        .size:           4
        .value_kind:     by_value
      - .offset:         36
        .size:           4
        .value_kind:     by_value
      - .offset:         40
        .size:           4
        .value_kind:     by_value
      - .offset:         44
        .size:           4
        .value_kind:     by_value
      - .offset:         48
        .size:           4
        .value_kind:     by_value
      - .offset:         52
        .size:           4
        .value_kind:     by_value
      - .offset:         56
        .size:           4
        .value_kind:     by_value
      - .offset:         60
        .size:           4
        .value_kind:     by_value
      - .offset:         64
        .size:           4
        .value_kind:     by_value
      - .offset:         68
        .size:           4
        .value_kind:     by_value
      - .offset:         72
        .size:           4
        .value_kind:     by_value
      - .offset:         76
        .size:           4
        .value_kind:     by_value
      - .offset:         80
        .size:           4
        .value_kind:     hidden_block_count_x
      - .offset:         84
        .size:           4
        .value_kind:     hidden_block_count_y
      - .offset:         88
        .size:           4
        .value_kind:     hidden_block_count_z
      - .offset:         92
        .size:           2
        .value_kind:     hidden_group_size_x
      - .offset:         94
        .size:           2
        .value_kind:     hidden_group_size_y
      - .offset:         96
        .size:           2
        .value_kind:     hidden_group_size_z
      - .offset:         98
        .size:           2
        .value_kind:     hidden_remainder_x
      - .offset:         100
        .size:           2
        .value_kind:     hidden_remainder_y
      - .offset:         102
        .size:           2
        .value_kind:     hidden_remainder_z
      - .offset:         120
        .size:           8
        .value_kind:     hidden_global_offset_x
      - .offset:         128
        .size:           8
        .value_kind:     hidden_global_offset_y
      - .offset:         136
        .size:           8
        .value_kind:     hidden_global_offset_z
      - .offset:         144
        .size:           2
        .value_kind:     hidden_grid_dims
    .group_segment_fixed_size: 0
    .kernarg_segment_align: 8
    .kernarg_segment_size: 336
    .language:       OpenCL C
    .language_version:
      - 2
      - 0
    .max_flat_workgroup_size: 1024
    .name:           _Z16conv2d_dw_kernelIf11whcn_layoutEvPKT_S3_PS1_iiiiiiiiiiiiii
    .private_segment_fixed_size: 0
    .sgpr_count:     27
    .sgpr_spill_count: 0
    .symbol:         _Z16conv2d_dw_kernelIf11whcn_layoutEvPKT_S3_PS1_iiiiiiiiiiiiii.kd
    .uniform_work_group_size: 1
    .uses_dynamic_stack: false
    .vgpr_count:     19
    .vgpr_spill_count: 0
    .wavefront_size: 64
  - .args:
      - .actual_access:  read_only
        .address_space:  global
        .offset:         0
        .size:           8
        .value_kind:     global_buffer
      - .actual_access:  read_only
        .address_space:  global
        .offset:         8
        .size:           8
        .value_kind:     global_buffer
      - .actual_access:  write_only
        .address_space:  global
        .offset:         16
        .size:           8
        .value_kind:     global_buffer
      - .offset:         24
        .size:           4
        .value_kind:     by_value
      - .offset:         28
        .size:           4
        .value_kind:     by_value
      - .offset:         32
        .size:           4
        .value_kind:     by_value
      - .offset:         36
        .size:           4
        .value_kind:     by_value
      - .offset:         40
        .size:           4
        .value_kind:     by_value
      - .offset:         44
        .size:           4
        .value_kind:     by_value
      - .offset:         48
        .size:           4
        .value_kind:     by_value
      - .offset:         52
        .size:           4
        .value_kind:     by_value
      - .offset:         56
        .size:           4
        .value_kind:     by_value
      - .offset:         60
        .size:           4
        .value_kind:     by_value
      - .offset:         64
        .size:           4
        .value_kind:     by_value
      - .offset:         68
        .size:           4
        .value_kind:     by_value
      - .offset:         72
        .size:           4
        .value_kind:     by_value
      - .offset:         76
        .size:           4
        .value_kind:     by_value
      - .offset:         80
        .size:           4
        .value_kind:     hidden_block_count_x
      - .offset:         84
        .size:           4
        .value_kind:     hidden_block_count_y
      - .offset:         88
        .size:           4
        .value_kind:     hidden_block_count_z
      - .offset:         92
        .size:           2
        .value_kind:     hidden_group_size_x
      - .offset:         94
        .size:           2
        .value_kind:     hidden_group_size_y
      - .offset:         96
        .size:           2
        .value_kind:     hidden_group_size_z
      - .offset:         98
        .size:           2
        .value_kind:     hidden_remainder_x
      - .offset:         100
        .size:           2
        .value_kind:     hidden_remainder_y
      - .offset:         102
        .size:           2
        .value_kind:     hidden_remainder_z
      - .offset:         120
        .size:           8
        .value_kind:     hidden_global_offset_x
      - .offset:         128
        .size:           8
        .value_kind:     hidden_global_offset_y
      - .offset:         136
        .size:           8
        .value_kind:     hidden_global_offset_z
      - .offset:         144
        .size:           2
        .value_kind:     hidden_grid_dims
    .group_segment_fixed_size: 0
    .kernarg_segment_align: 8
    .kernarg_segment_size: 336
    .language:       OpenCL C
    .language_version:
      - 2
      - 0
    .max_flat_workgroup_size: 1024
    .name:           _Z16conv2d_dw_kernelIf11cwhn_layoutEvPKT_S3_PS1_iiiiiiiiiiiiii
    .private_segment_fixed_size: 0
    .sgpr_count:     26
    .sgpr_spill_count: 0
    .symbol:         _Z16conv2d_dw_kernelIf11cwhn_layoutEvPKT_S3_PS1_iiiiiiiiiiiiii.kd
    .uniform_work_group_size: 1
    .uses_dynamic_stack: false
    .vgpr_count:     20
    .vgpr_spill_count: 0
    .wavefront_size: 64
amdhsa.target:   amdgcn-amd-amdhsa--gfx906
amdhsa.version:
  - 1
  - 2
...

	.end_amdgpu_metadata
